;; amdgpu-corpus repo=ggml-org/llama.cpp kind=compiled arch=gfx1250 opt=O3
	.amdgcn_target "amdgcn-amd-amdhsa--gfx1250"
	.amdhsa_code_object_version 6
	.section	.text._ZL24conv_transpose_1d_kerneliiiiiiiiiiiiiiiiPKfS0_Pf,"axG",@progbits,_ZL24conv_transpose_1d_kerneliiiiiiiiiiiiiiiiPKfS0_Pf,comdat
	.globl	_ZL24conv_transpose_1d_kerneliiiiiiiiiiiiiiiiPKfS0_Pf ; -- Begin function _ZL24conv_transpose_1d_kerneliiiiiiiiiiiiiiiiPKfS0_Pf
	.p2align	8
	.type	_ZL24conv_transpose_1d_kerneliiiiiiiiiiiiiiiiPKfS0_Pf,@function
_ZL24conv_transpose_1d_kerneliiiiiiiiiiiiiiiiPKfS0_Pf: ; @_ZL24conv_transpose_1d_kerneliiiiiiiiiiiiiiiiPKfS0_Pf
; %bb.0:
	s_clause 0x1
	s_load_b32 s2, s[0:1], 0x64
	s_load_b128 s[4:7], s[0:1], 0xc
	s_bfe_u32 s3, ttmp6, 0x4000c
	s_and_b32 s8, ttmp6, 15
	s_add_co_i32 s3, s3, 1
	s_getreg_b32 s9, hwreg(HW_REG_IB_STS2, 6, 4)
	s_mul_i32 s3, ttmp9, s3
	s_mov_b32 s13, 0
	s_add_co_i32 s8, s8, s3
	s_wait_kmcnt 0x0
	s_and_b32 s2, s2, 0xffff
	s_cmp_eq_u32 s9, 0
	s_cselect_b32 s3, ttmp9, s8
	s_delay_alu instid0(SALU_CYCLE_1) | instskip(SKIP_1) | instid1(VALU_DEP_1)
	v_mad_u32 v2, s3, s2, v0
	s_mov_b32 s2, exec_lo
	v_cmpx_gt_i32_e64 s4, v2
	s_cbranch_execz .LBB0_10
; %bb.1:
	s_clause 0x2
	s_load_b32 s14, s[0:1], 0x30
	s_load_b128 s[8:11], s[0:1], 0x40
	s_load_b64 s[2:3], s[0:1], 0x50
	v_mov_b32_e32 v1, 0
	s_wait_kmcnt 0x0
	s_abs_i32 s15, s14
	s_cmp_lt_i32 s7, 1
	s_cvt_f32_u32 s4, s15
	s_delay_alu instid0(SALU_CYCLE_3) | instskip(SKIP_1) | instid1(TRANS32_DEP_1)
	v_rcp_iflag_f32_e32 v0, s4
	v_nop
	v_readfirstlane_b32 s4, v0
	s_cbranch_scc1 .LBB0_9
; %bb.2:
	s_mul_f32 s4, s4, 0x4f7ffffe
	v_sub_nc_u32_e32 v0, 0, v2
	s_sub_co_i32 s12, 0, s15
	s_mul_i32 s6, s6, s5
	s_cvt_u32_f32 s4, s4
	s_delay_alu instid0(VALU_DEP_1) | instskip(NEXT) | instid1(SALU_CYCLE_2)
	v_max_i32_e32 v0, v2, v0
	s_mul_i32 s12, s12, s4
	s_delay_alu instid0(SALU_CYCLE_1) | instskip(NEXT) | instid1(SALU_CYCLE_1)
	s_mul_hi_u32 s12, s4, s12
	s_add_co_i32 s12, s4, s12
	s_load_b32 s4, s[0:1], 0x20
	v_mul_u64_e32 v[4:5], s[12:13], v[0:1]
	s_ashr_i32 s12, s14, 31
	s_wait_xcnt 0x0
	s_load_b32 s1, s[0:1], 0x0
	s_wait_kmcnt 0x0
	s_cmp_gt_i32 s4, 0
	s_delay_alu instid0(VALU_DEP_1) | instskip(NEXT) | instid1(VALU_DEP_1)
	v_mul_lo_u32 v3, v5, s15
	v_dual_sub_nc_u32 v0, v0, v3 :: v_dual_add_nc_u32 v3, 1, v5
	s_delay_alu instid0(VALU_DEP_1) | instskip(NEXT) | instid1(VALU_DEP_2)
	v_cmp_le_u32_e32 vcc_lo, s15, v0
	v_dual_cndmask_b32 v3, v5, v3, vcc_lo :: v_dual_ashrrev_i32 v5, 31, v2
	v_subrev_nc_u32_e32 v4, s15, v0
	s_delay_alu instid0(VALU_DEP_1) | instskip(NEXT) | instid1(VALU_DEP_1)
	v_dual_cndmask_b32 v0, v0, v4, vcc_lo :: v_dual_add_nc_u32 v4, 1, v3
	v_cmp_le_u32_e32 vcc_lo, s15, v0
	s_delay_alu instid0(VALU_DEP_4) | instskip(SKIP_3) | instid1(VALU_DEP_1)
	v_xor_b32_e32 v5, s12, v5
	s_cselect_b32 s12, -1, 0
	s_sub_co_i32 s0, s5, s14
	v_cndmask_b32_e32 v0, v3, v4, vcc_lo
	v_xor_b32_e32 v0, v0, v5
	s_delay_alu instid0(VALU_DEP_1) | instskip(NEXT) | instid1(VALU_DEP_1)
	v_sub_nc_u32_e32 v0, v0, v5
	v_mul_lo_u32 v3, v0, s14
	v_mad_u32 v0, v0, s0, v2
	s_mov_b32 s14, 0
	s_delay_alu instid0(VALU_DEP_2)
	v_sub_nc_u32_e32 v3, v2, v3
	s_branch .LBB0_4
.LBB0_3:                                ;   in Loop: Header=BB0_4 Depth=1
	s_delay_alu instid0(VALU_DEP_2)
	v_add_nc_u32_e32 v0, s6, v0
	s_add_co_i32 s14, s14, 1
	s_add_co_i32 s13, s13, s4
	s_cmp_eq_u32 s14, s7
	s_cbranch_scc1 .LBB0_9
.LBB0_4:                                ; =>This Loop Header: Depth=1
                                        ;     Child Loop BB0_7 Depth 2
	s_and_not1_b32 vcc_lo, exec_lo, s12
	s_cbranch_vccnz .LBB0_3
; %bb.5:                                ;   in Loop: Header=BB0_4 Depth=1
	s_delay_alu instid0(VALU_DEP_2)
	v_mov_b32_e32 v4, v0
	s_mov_b32 s15, 0
	s_mov_b32 s16, s13
	;; [unrolled: 1-line block ×3, first 2 shown]
	s_branch .LBB0_7
.LBB0_6:                                ;   in Loop: Header=BB0_7 Depth=2
	s_or_b32 exec_lo, exec_lo, s0
	v_subrev_nc_u32_e32 v4, s1, v4
	s_add_co_i32 s17, s17, -1
	s_add_co_i32 s16, s16, 1
	s_add_co_i32 s15, s15, s1
	s_cmp_eq_u32 s17, 0
	s_cbranch_scc1 .LBB0_3
.LBB0_7:                                ;   Parent Loop BB0_4 Depth=1
                                        ; =>  This Inner Loop Header: Depth=2
	s_add_co_i32 s0, s5, s15
	v_cmp_le_i32_e32 vcc_lo, s15, v3
	v_cmp_gt_i32_e64 s0, s0, v3
	s_and_b32 s18, vcc_lo, s0
	s_delay_alu instid0(SALU_CYCLE_1)
	s_and_saveexec_b32 s0, s18
	s_cbranch_execz .LBB0_6
; %bb.8:                                ;   in Loop: Header=BB0_7 Depth=2
	global_load_b32 v5, v4, s[8:9] scale_offset
	s_load_b32 s18, s[10:11], s16 offset:0x0 scale_offset
	s_wait_loadcnt 0x0
	s_wait_kmcnt 0x0
	v_fmac_f32_e32 v1, s18, v5
	s_branch .LBB0_6
.LBB0_9:
	global_store_b32 v2, v1, s[2:3] scale_offset
.LBB0_10:
	s_endpgm
	.section	.rodata,"a",@progbits
	.p2align	6, 0x0
	.amdhsa_kernel _ZL24conv_transpose_1d_kerneliiiiiiiiiiiiiiiiPKfS0_Pf
		.amdhsa_group_segment_fixed_size 0
		.amdhsa_private_segment_fixed_size 0
		.amdhsa_kernarg_size 344
		.amdhsa_user_sgpr_count 2
		.amdhsa_user_sgpr_dispatch_ptr 0
		.amdhsa_user_sgpr_queue_ptr 0
		.amdhsa_user_sgpr_kernarg_segment_ptr 1
		.amdhsa_user_sgpr_dispatch_id 0
		.amdhsa_user_sgpr_kernarg_preload_length 0
		.amdhsa_user_sgpr_kernarg_preload_offset 0
		.amdhsa_user_sgpr_private_segment_size 0
		.amdhsa_wavefront_size32 1
		.amdhsa_uses_dynamic_stack 0
		.amdhsa_enable_private_segment 0
		.amdhsa_system_sgpr_workgroup_id_x 1
		.amdhsa_system_sgpr_workgroup_id_y 0
		.amdhsa_system_sgpr_workgroup_id_z 0
		.amdhsa_system_sgpr_workgroup_info 0
		.amdhsa_system_vgpr_workitem_id 0
		.amdhsa_next_free_vgpr 6
		.amdhsa_next_free_sgpr 19
		.amdhsa_named_barrier_count 0
		.amdhsa_reserve_vcc 1
		.amdhsa_float_round_mode_32 0
		.amdhsa_float_round_mode_16_64 0
		.amdhsa_float_denorm_mode_32 3
		.amdhsa_float_denorm_mode_16_64 3
		.amdhsa_fp16_overflow 0
		.amdhsa_memory_ordered 1
		.amdhsa_forward_progress 1
		.amdhsa_inst_pref_size 5
		.amdhsa_round_robin_scheduling 0
		.amdhsa_exception_fp_ieee_invalid_op 0
		.amdhsa_exception_fp_denorm_src 0
		.amdhsa_exception_fp_ieee_div_zero 0
		.amdhsa_exception_fp_ieee_overflow 0
		.amdhsa_exception_fp_ieee_underflow 0
		.amdhsa_exception_fp_ieee_inexact 0
		.amdhsa_exception_int_div_zero 0
	.end_amdhsa_kernel
	.section	.text._ZL24conv_transpose_1d_kerneliiiiiiiiiiiiiiiiPKfS0_Pf,"axG",@progbits,_ZL24conv_transpose_1d_kerneliiiiiiiiiiiiiiiiPKfS0_Pf,comdat
.Lfunc_end0:
	.size	_ZL24conv_transpose_1d_kerneliiiiiiiiiiiiiiiiPKfS0_Pf, .Lfunc_end0-_ZL24conv_transpose_1d_kerneliiiiiiiiiiiiiiiiPKfS0_Pf
                                        ; -- End function
	.set _ZL24conv_transpose_1d_kerneliiiiiiiiiiiiiiiiPKfS0_Pf.num_vgpr, 6
	.set _ZL24conv_transpose_1d_kerneliiiiiiiiiiiiiiiiPKfS0_Pf.num_agpr, 0
	.set _ZL24conv_transpose_1d_kerneliiiiiiiiiiiiiiiiPKfS0_Pf.numbered_sgpr, 19
	.set _ZL24conv_transpose_1d_kerneliiiiiiiiiiiiiiiiPKfS0_Pf.num_named_barrier, 0
	.set _ZL24conv_transpose_1d_kerneliiiiiiiiiiiiiiiiPKfS0_Pf.private_seg_size, 0
	.set _ZL24conv_transpose_1d_kerneliiiiiiiiiiiiiiiiPKfS0_Pf.uses_vcc, 1
	.set _ZL24conv_transpose_1d_kerneliiiiiiiiiiiiiiiiPKfS0_Pf.uses_flat_scratch, 0
	.set _ZL24conv_transpose_1d_kerneliiiiiiiiiiiiiiiiPKfS0_Pf.has_dyn_sized_stack, 0
	.set _ZL24conv_transpose_1d_kerneliiiiiiiiiiiiiiiiPKfS0_Pf.has_recursion, 0
	.set _ZL24conv_transpose_1d_kerneliiiiiiiiiiiiiiiiPKfS0_Pf.has_indirect_call, 0
	.section	.AMDGPU.csdata,"",@progbits
; Kernel info:
; codeLenInByte = 552
; TotalNumSgprs: 21
; NumVgprs: 6
; ScratchSize: 0
; MemoryBound: 0
; FloatMode: 240
; IeeeMode: 1
; LDSByteSize: 0 bytes/workgroup (compile time only)
; SGPRBlocks: 0
; VGPRBlocks: 0
; NumSGPRsForWavesPerEU: 21
; NumVGPRsForWavesPerEU: 6
; NamedBarCnt: 0
; Occupancy: 16
; WaveLimiterHint : 0
; COMPUTE_PGM_RSRC2:SCRATCH_EN: 0
; COMPUTE_PGM_RSRC2:USER_SGPR: 2
; COMPUTE_PGM_RSRC2:TRAP_HANDLER: 0
; COMPUTE_PGM_RSRC2:TGID_X_EN: 1
; COMPUTE_PGM_RSRC2:TGID_Y_EN: 0
; COMPUTE_PGM_RSRC2:TGID_Z_EN: 0
; COMPUTE_PGM_RSRC2:TIDIG_COMP_CNT: 0
	.section	.AMDGPU.gpr_maximums,"",@progbits
	.set amdgpu.max_num_vgpr, 0
	.set amdgpu.max_num_agpr, 0
	.set amdgpu.max_num_sgpr, 0
	.section	.AMDGPU.csdata,"",@progbits
	.type	__hip_cuid_acfc011dc04f04f2,@object ; @__hip_cuid_acfc011dc04f04f2
	.section	.bss,"aw",@nobits
	.globl	__hip_cuid_acfc011dc04f04f2
__hip_cuid_acfc011dc04f04f2:
	.byte	0                               ; 0x0
	.size	__hip_cuid_acfc011dc04f04f2, 1

	.ident	"AMD clang version 22.0.0git (https://github.com/RadeonOpenCompute/llvm-project roc-7.2.4 26084 f58b06dce1f9c15707c5f808fd002e18c2accf7e)"
	.section	".note.GNU-stack","",@progbits
	.addrsig
	.addrsig_sym __hip_cuid_acfc011dc04f04f2
	.amdgpu_metadata
---
amdhsa.kernels:
  - .args:
      - .offset:         0
        .size:           4
        .value_kind:     by_value
      - .offset:         4
        .size:           4
        .value_kind:     by_value
      - .offset:         8
        .size:           4
        .value_kind:     by_value
      - .offset:         12
        .size:           4
        .value_kind:     by_value
      - .offset:         16
        .size:           4
        .value_kind:     by_value
      - .offset:         20
        .size:           4
        .value_kind:     by_value
      - .offset:         24
        .size:           4
        .value_kind:     by_value
      - .offset:         28
        .size:           4
        .value_kind:     by_value
      - .offset:         32
        .size:           4
        .value_kind:     by_value
      - .offset:         36
        .size:           4
        .value_kind:     by_value
      - .offset:         40
        .size:           4
        .value_kind:     by_value
      - .offset:         44
        .size:           4
        .value_kind:     by_value
      - .offset:         48
        .size:           4
        .value_kind:     by_value
      - .offset:         52
        .size:           4
        .value_kind:     by_value
      - .offset:         56
        .size:           4
        .value_kind:     by_value
      - .offset:         60
        .size:           4
        .value_kind:     by_value
      - .address_space:  global
        .offset:         64
        .size:           8
        .value_kind:     global_buffer
      - .address_space:  global
        .offset:         72
        .size:           8
        .value_kind:     global_buffer
      - .address_space:  global
        .offset:         80
        .size:           8
        .value_kind:     global_buffer
      - .offset:         88
        .size:           4
        .value_kind:     hidden_block_count_x
      - .offset:         92
        .size:           4
        .value_kind:     hidden_block_count_y
      - .offset:         96
        .size:           4
        .value_kind:     hidden_block_count_z
      - .offset:         100
        .size:           2
        .value_kind:     hidden_group_size_x
      - .offset:         102
        .size:           2
        .value_kind:     hidden_group_size_y
      - .offset:         104
        .size:           2
        .value_kind:     hidden_group_size_z
      - .offset:         106
        .size:           2
        .value_kind:     hidden_remainder_x
      - .offset:         108
        .size:           2
        .value_kind:     hidden_remainder_y
      - .offset:         110
        .size:           2
        .value_kind:     hidden_remainder_z
      - .offset:         128
        .size:           8
        .value_kind:     hidden_global_offset_x
      - .offset:         136
        .size:           8
        .value_kind:     hidden_global_offset_y
      - .offset:         144
        .size:           8
        .value_kind:     hidden_global_offset_z
      - .offset:         152
        .size:           2
        .value_kind:     hidden_grid_dims
    .group_segment_fixed_size: 0
    .kernarg_segment_align: 8
    .kernarg_segment_size: 344
    .language:       OpenCL C
    .language_version:
      - 2
      - 0
    .max_flat_workgroup_size: 1024
    .name:           _ZL24conv_transpose_1d_kerneliiiiiiiiiiiiiiiiPKfS0_Pf
    .private_segment_fixed_size: 0
    .sgpr_count:     21
    .sgpr_spill_count: 0
    .symbol:         _ZL24conv_transpose_1d_kerneliiiiiiiiiiiiiiiiPKfS0_Pf.kd
    .uniform_work_group_size: 1
    .uses_dynamic_stack: false
    .vgpr_count:     6
    .vgpr_spill_count: 0
    .wavefront_size: 32
amdhsa.target:   amdgcn-amd-amdhsa--gfx1250
amdhsa.version:
  - 1
  - 2
...

	.end_amdgpu_metadata
